;; amdgpu-corpus repo=ROCm/rocFFT kind=compiled arch=gfx906 opt=O3
	.text
	.amdgcn_target "amdgcn-amd-amdhsa--gfx906"
	.amdhsa_code_object_version 6
	.protected	fft_rtc_fwd_len896_factors_2_2_2_2_2_2_2_7_wgs_112_tpt_112_half_ip_CI_unitstride_sbrr_dirReg ; -- Begin function fft_rtc_fwd_len896_factors_2_2_2_2_2_2_2_7_wgs_112_tpt_112_half_ip_CI_unitstride_sbrr_dirReg
	.globl	fft_rtc_fwd_len896_factors_2_2_2_2_2_2_2_7_wgs_112_tpt_112_half_ip_CI_unitstride_sbrr_dirReg
	.p2align	8
	.type	fft_rtc_fwd_len896_factors_2_2_2_2_2_2_2_7_wgs_112_tpt_112_half_ip_CI_unitstride_sbrr_dirReg,@function
fft_rtc_fwd_len896_factors_2_2_2_2_2_2_2_7_wgs_112_tpt_112_half_ip_CI_unitstride_sbrr_dirReg: ; @fft_rtc_fwd_len896_factors_2_2_2_2_2_2_2_7_wgs_112_tpt_112_half_ip_CI_unitstride_sbrr_dirReg
; %bb.0:
	s_load_dwordx2 s[2:3], s[4:5], 0x50
	s_load_dwordx4 s[8:11], s[4:5], 0x0
	s_load_dwordx2 s[12:13], s[4:5], 0x18
	v_mul_u32_u24_e32 v1, 0x24a, v0
	v_add_u32_sdwa v5, s6, v1 dst_sel:DWORD dst_unused:UNUSED_PAD src0_sel:DWORD src1_sel:WORD_1
	v_mov_b32_e32 v3, 0
	s_waitcnt lgkmcnt(0)
	v_cmp_lt_u64_e64 s[0:1], s[10:11], 2
	v_mov_b32_e32 v1, 0
	v_mov_b32_e32 v6, v3
	s_and_b64 vcc, exec, s[0:1]
	v_mov_b32_e32 v2, 0
	s_cbranch_vccnz .LBB0_8
; %bb.1:
	s_load_dwordx2 s[0:1], s[4:5], 0x10
	s_add_u32 s6, s12, 8
	s_addc_u32 s7, s13, 0
	v_mov_b32_e32 v1, 0
	v_mov_b32_e32 v2, 0
	s_waitcnt lgkmcnt(0)
	s_add_u32 s14, s0, 8
	s_addc_u32 s15, s1, 0
	s_mov_b64 s[16:17], 1
.LBB0_2:                                ; =>This Inner Loop Header: Depth=1
	s_load_dwordx2 s[18:19], s[14:15], 0x0
                                        ; implicit-def: $vgpr7_vgpr8
	s_waitcnt lgkmcnt(0)
	v_or_b32_e32 v4, s19, v6
	v_cmp_ne_u64_e32 vcc, 0, v[3:4]
	s_and_saveexec_b64 s[0:1], vcc
	s_xor_b64 s[20:21], exec, s[0:1]
	s_cbranch_execz .LBB0_4
; %bb.3:                                ;   in Loop: Header=BB0_2 Depth=1
	v_cvt_f32_u32_e32 v4, s18
	v_cvt_f32_u32_e32 v7, s19
	s_sub_u32 s0, 0, s18
	s_subb_u32 s1, 0, s19
	v_mac_f32_e32 v4, 0x4f800000, v7
	v_rcp_f32_e32 v4, v4
	v_mul_f32_e32 v4, 0x5f7ffffc, v4
	v_mul_f32_e32 v7, 0x2f800000, v4
	v_trunc_f32_e32 v7, v7
	v_mac_f32_e32 v4, 0xcf800000, v7
	v_cvt_u32_f32_e32 v7, v7
	v_cvt_u32_f32_e32 v4, v4
	v_mul_lo_u32 v8, s0, v7
	v_mul_hi_u32 v9, s0, v4
	v_mul_lo_u32 v11, s1, v4
	v_mul_lo_u32 v10, s0, v4
	v_add_u32_e32 v8, v9, v8
	v_add_u32_e32 v8, v8, v11
	v_mul_hi_u32 v9, v4, v10
	v_mul_lo_u32 v11, v4, v8
	v_mul_hi_u32 v13, v4, v8
	v_mul_hi_u32 v12, v7, v10
	v_mul_lo_u32 v10, v7, v10
	v_mul_hi_u32 v14, v7, v8
	v_add_co_u32_e32 v9, vcc, v9, v11
	v_addc_co_u32_e32 v11, vcc, 0, v13, vcc
	v_mul_lo_u32 v8, v7, v8
	v_add_co_u32_e32 v9, vcc, v9, v10
	v_addc_co_u32_e32 v9, vcc, v11, v12, vcc
	v_addc_co_u32_e32 v10, vcc, 0, v14, vcc
	v_add_co_u32_e32 v8, vcc, v9, v8
	v_addc_co_u32_e32 v9, vcc, 0, v10, vcc
	v_add_co_u32_e32 v4, vcc, v4, v8
	v_addc_co_u32_e32 v7, vcc, v7, v9, vcc
	v_mul_lo_u32 v8, s0, v7
	v_mul_hi_u32 v9, s0, v4
	v_mul_lo_u32 v10, s1, v4
	v_mul_lo_u32 v11, s0, v4
	v_add_u32_e32 v8, v9, v8
	v_add_u32_e32 v8, v8, v10
	v_mul_lo_u32 v12, v4, v8
	v_mul_hi_u32 v13, v4, v11
	v_mul_hi_u32 v14, v4, v8
	;; [unrolled: 1-line block ×3, first 2 shown]
	v_mul_lo_u32 v11, v7, v11
	v_mul_hi_u32 v9, v7, v8
	v_add_co_u32_e32 v12, vcc, v13, v12
	v_addc_co_u32_e32 v13, vcc, 0, v14, vcc
	v_mul_lo_u32 v8, v7, v8
	v_add_co_u32_e32 v11, vcc, v12, v11
	v_addc_co_u32_e32 v10, vcc, v13, v10, vcc
	v_addc_co_u32_e32 v9, vcc, 0, v9, vcc
	v_add_co_u32_e32 v8, vcc, v10, v8
	v_addc_co_u32_e32 v9, vcc, 0, v9, vcc
	v_add_co_u32_e32 v4, vcc, v4, v8
	v_addc_co_u32_e32 v9, vcc, v7, v9, vcc
	v_mad_u64_u32 v[7:8], s[0:1], v5, v9, 0
	v_mul_hi_u32 v10, v5, v4
	v_add_co_u32_e32 v11, vcc, v10, v7
	v_addc_co_u32_e32 v12, vcc, 0, v8, vcc
	v_mad_u64_u32 v[7:8], s[0:1], v6, v4, 0
	v_mad_u64_u32 v[9:10], s[0:1], v6, v9, 0
	v_add_co_u32_e32 v4, vcc, v11, v7
	v_addc_co_u32_e32 v4, vcc, v12, v8, vcc
	v_addc_co_u32_e32 v7, vcc, 0, v10, vcc
	v_add_co_u32_e32 v4, vcc, v4, v9
	v_addc_co_u32_e32 v9, vcc, 0, v7, vcc
	v_mul_lo_u32 v10, s19, v4
	v_mul_lo_u32 v11, s18, v9
	v_mad_u64_u32 v[7:8], s[0:1], s18, v4, 0
	v_add3_u32 v8, v8, v11, v10
	v_sub_u32_e32 v10, v6, v8
	v_mov_b32_e32 v11, s19
	v_sub_co_u32_e32 v7, vcc, v5, v7
	v_subb_co_u32_e64 v10, s[0:1], v10, v11, vcc
	v_subrev_co_u32_e64 v11, s[0:1], s18, v7
	v_subbrev_co_u32_e64 v10, s[0:1], 0, v10, s[0:1]
	v_cmp_le_u32_e64 s[0:1], s19, v10
	v_cndmask_b32_e64 v12, 0, -1, s[0:1]
	v_cmp_le_u32_e64 s[0:1], s18, v11
	v_cndmask_b32_e64 v11, 0, -1, s[0:1]
	v_cmp_eq_u32_e64 s[0:1], s19, v10
	v_cndmask_b32_e64 v10, v12, v11, s[0:1]
	v_add_co_u32_e64 v11, s[0:1], 2, v4
	v_addc_co_u32_e64 v12, s[0:1], 0, v9, s[0:1]
	v_add_co_u32_e64 v13, s[0:1], 1, v4
	v_addc_co_u32_e64 v14, s[0:1], 0, v9, s[0:1]
	v_subb_co_u32_e32 v8, vcc, v6, v8, vcc
	v_cmp_ne_u32_e64 s[0:1], 0, v10
	v_cmp_le_u32_e32 vcc, s19, v8
	v_cndmask_b32_e64 v10, v14, v12, s[0:1]
	v_cndmask_b32_e64 v12, 0, -1, vcc
	v_cmp_le_u32_e32 vcc, s18, v7
	v_cndmask_b32_e64 v7, 0, -1, vcc
	v_cmp_eq_u32_e32 vcc, s19, v8
	v_cndmask_b32_e32 v7, v12, v7, vcc
	v_cmp_ne_u32_e32 vcc, 0, v7
	v_cndmask_b32_e64 v7, v13, v11, s[0:1]
	v_cndmask_b32_e32 v8, v9, v10, vcc
	v_cndmask_b32_e32 v7, v4, v7, vcc
.LBB0_4:                                ;   in Loop: Header=BB0_2 Depth=1
	s_andn2_saveexec_b64 s[0:1], s[20:21]
	s_cbranch_execz .LBB0_6
; %bb.5:                                ;   in Loop: Header=BB0_2 Depth=1
	v_cvt_f32_u32_e32 v4, s18
	s_sub_i32 s20, 0, s18
	v_rcp_iflag_f32_e32 v4, v4
	v_mul_f32_e32 v4, 0x4f7ffffe, v4
	v_cvt_u32_f32_e32 v4, v4
	v_mul_lo_u32 v7, s20, v4
	v_mul_hi_u32 v7, v4, v7
	v_add_u32_e32 v4, v4, v7
	v_mul_hi_u32 v4, v5, v4
	v_mul_lo_u32 v7, v4, s18
	v_add_u32_e32 v8, 1, v4
	v_sub_u32_e32 v7, v5, v7
	v_subrev_u32_e32 v9, s18, v7
	v_cmp_le_u32_e32 vcc, s18, v7
	v_cndmask_b32_e32 v7, v7, v9, vcc
	v_cndmask_b32_e32 v4, v4, v8, vcc
	v_add_u32_e32 v8, 1, v4
	v_cmp_le_u32_e32 vcc, s18, v7
	v_cndmask_b32_e32 v7, v4, v8, vcc
	v_mov_b32_e32 v8, v3
.LBB0_6:                                ;   in Loop: Header=BB0_2 Depth=1
	s_or_b64 exec, exec, s[0:1]
	v_mul_lo_u32 v4, v8, s18
	v_mul_lo_u32 v11, v7, s19
	v_mad_u64_u32 v[9:10], s[0:1], v7, s18, 0
	s_load_dwordx2 s[0:1], s[6:7], 0x0
	s_add_u32 s16, s16, 1
	v_add3_u32 v4, v10, v11, v4
	v_sub_co_u32_e32 v5, vcc, v5, v9
	v_subb_co_u32_e32 v4, vcc, v6, v4, vcc
	s_waitcnt lgkmcnt(0)
	v_mul_lo_u32 v4, s0, v4
	v_mul_lo_u32 v6, s1, v5
	v_mad_u64_u32 v[1:2], s[0:1], s0, v5, v[1:2]
	s_addc_u32 s17, s17, 0
	s_add_u32 s6, s6, 8
	v_add3_u32 v2, v6, v2, v4
	v_mov_b32_e32 v4, s10
	v_mov_b32_e32 v5, s11
	s_addc_u32 s7, s7, 0
	v_cmp_ge_u64_e32 vcc, s[16:17], v[4:5]
	s_add_u32 s14, s14, 8
	s_addc_u32 s15, s15, 0
	s_cbranch_vccnz .LBB0_9
; %bb.7:                                ;   in Loop: Header=BB0_2 Depth=1
	v_mov_b32_e32 v5, v7
	v_mov_b32_e32 v6, v8
	s_branch .LBB0_2
.LBB0_8:
	v_mov_b32_e32 v8, v6
	v_mov_b32_e32 v7, v5
.LBB0_9:
	s_lshl_b64 s[0:1], s[10:11], 3
	s_add_u32 s0, s12, s0
	s_addc_u32 s1, s13, s1
	s_load_dwordx2 s[6:7], s[0:1], 0x0
	s_load_dwordx2 s[10:11], s[4:5], 0x20
                                        ; implicit-def: $vgpr17
                                        ; implicit-def: $vgpr6
	s_waitcnt lgkmcnt(0)
	v_mad_u64_u32 v[1:2], s[0:1], s6, v7, v[1:2]
	s_mov_b32 s0, 0x2492493
	v_mul_lo_u32 v3, s6, v8
	v_mul_lo_u32 v4, s7, v7
	v_mul_hi_u32 v5, v0, s0
	v_cmp_gt_u64_e32 vcc, s[10:11], v[7:8]
	v_cmp_le_u64_e64 s[0:1], s[10:11], v[7:8]
	v_add3_u32 v2, v4, v2, v3
	v_mul_u32_u24_e32 v3, 0x70, v5
	v_sub_u32_e32 v0, v0, v3
                                        ; implicit-def: $vgpr5
	s_and_saveexec_b64 s[4:5], s[0:1]
	s_xor_b64 s[0:1], exec, s[4:5]
; %bb.10:
	v_add_u32_e32 v17, 0x70, v0
	v_add_u32_e32 v5, 0xe0, v0
	;; [unrolled: 1-line block ×3, first 2 shown]
; %bb.11:
	s_or_saveexec_b64 s[4:5], s[0:1]
	v_lshlrev_b64 v[2:3], 2, v[1:2]
	s_xor_b64 exec, exec, s[4:5]
	s_cbranch_execz .LBB0_13
; %bb.12:
	v_mov_b32_e32 v1, 0
	v_mov_b32_e32 v4, s3
	v_add_co_u32_e64 v6, s[0:1], s2, v2
	v_addc_co_u32_e64 v7, s[0:1], v4, v3, s[0:1]
	v_lshlrev_b64 v[4:5], 2, v[0:1]
	v_add_u32_e32 v17, 0x70, v0
	v_add_co_u32_e64 v4, s[0:1], v6, v4
	v_addc_co_u32_e64 v5, s[0:1], v7, v5, s[0:1]
	global_load_dword v1, v[4:5], off
	global_load_dword v7, v[4:5], off offset:448
	global_load_dword v8, v[4:5], off offset:896
	;; [unrolled: 1-line block ×7, first 2 shown]
	v_lshl_add_u32 v4, v0, 2, 0
	v_add_u32_e32 v5, 0xe0, v0
	v_add_u32_e32 v6, 0x150, v0
	;; [unrolled: 1-line block ×5, first 2 shown]
	s_waitcnt vmcnt(6)
	ds_write2_b32 v4, v1, v7 offset1:112
	s_waitcnt vmcnt(4)
	ds_write2_b32 v14, v8, v9 offset0:96 offset1:208
	s_waitcnt vmcnt(2)
	ds_write2_b32 v15, v10, v11 offset0:64 offset1:176
	;; [unrolled: 2-line block ×3, first 2 shown]
.LBB0_13:
	s_or_b64 exec, exec, s[4:5]
	v_lshlrev_b32_e32 v1, 2, v0
	v_add_u32_e32 v16, 0, v1
	v_add_u32_e32 v13, 0x600, v16
	s_waitcnt lgkmcnt(0)
	s_barrier
	v_add_u32_e32 v7, 0x200, v16
	v_add_u32_e32 v9, 0xa00, v16
	ds_read2_b32 v[11:12], v16 offset1:112
	ds_read2_b32 v[13:14], v13 offset0:64 offset1:176
	ds_read2_b32 v[7:8], v7 offset0:96 offset1:208
	;; [unrolled: 1-line block ×3, first 2 shown]
	v_add_u32_e32 v4, v16, v1
	v_lshl_add_u32 v1, v17, 3, 0
	s_waitcnt lgkmcnt(2)
	v_pk_add_f16 v13, v11, v13 neg_lo:[0,1] neg_hi:[0,1]
	v_pk_add_f16 v14, v12, v14 neg_lo:[0,1] neg_hi:[0,1]
	s_waitcnt lgkmcnt(0)
	v_pk_add_f16 v10, v8, v10 neg_lo:[0,1] neg_hi:[0,1]
	v_pk_add_f16 v9, v7, v9 neg_lo:[0,1] neg_hi:[0,1]
	v_pk_fma_f16 v11, v11, 2.0, v13 op_sel_hi:[1,0,1] neg_lo:[0,0,1] neg_hi:[0,0,1]
	v_lshl_add_u32 v15, v5, 3, 0
	v_lshl_add_u32 v18, v6, 3, 0
	v_pk_fma_f16 v8, v8, 2.0, v10 op_sel_hi:[1,0,1] neg_lo:[0,0,1] neg_hi:[0,0,1]
	v_pk_fma_f16 v7, v7, 2.0, v9 op_sel_hi:[1,0,1] neg_lo:[0,0,1] neg_hi:[0,0,1]
	;; [unrolled: 1-line block ×3, first 2 shown]
	s_barrier
	ds_write2_b32 v4, v11, v13 offset1:1
	ds_write2_b32 v1, v12, v14 offset1:1
	;; [unrolled: 1-line block ×4, first 2 shown]
	v_and_b32_e32 v14, 1, v0
	v_lshlrev_b32_e32 v4, 2, v14
	s_waitcnt lgkmcnt(0)
	s_barrier
	global_load_dword v22, v4, s[8:9]
	v_lshlrev_b32_e32 v12, 2, v6
	v_lshlrev_b32_e32 v9, 1, v17
	;; [unrolled: 1-line block ×4, first 2 shown]
	s_movk_i32 s4, 0x1fc
	s_movk_i32 s5, 0x3fc
	v_lshlrev_b32_e32 v4, 2, v17
	v_lshlrev_b32_e32 v10, 2, v5
	v_lshlrev_b32_e32 v7, 1, v0
	s_movk_i32 s1, 0xfc
	v_sub_u32_e32 v12, v18, v12
	v_and_or_b32 v18, v9, s4, v14
	v_and_or_b32 v19, v11, s5, v14
	;; [unrolled: 1-line block ×3, first 2 shown]
	v_sub_u32_e32 v8, v1, v4
	v_sub_u32_e32 v10, v15, v10
	v_and_or_b32 v15, v7, s1, v14
	v_add_u32_e32 v14, 0x800, v16
	v_lshl_add_u32 v23, v18, 2, 0
	v_lshl_add_u32 v24, v19, 2, 0
	;; [unrolled: 1-line block ×3, first 2 shown]
	ds_read_b32 v26, v12
	ds_read_b32 v27, v16 offset:3136
	ds_read2_b32 v[18:19], v14 offset0:48 offset1:160
	ds_read_b32 v28, v10
	ds_read_b32 v29, v8
	ds_read2st64_b32 v[20:21], v16 offset1:7
	s_mov_b32 s0, 0xffff
	v_lshl_add_u32 v15, v15, 2, 0
	s_waitcnt vmcnt(0) lgkmcnt(0)
	s_barrier
	s_movk_i32 s1, 0xf8
	s_movk_i32 s4, 0x1f8
	;; [unrolled: 1-line block ×3, first 2 shown]
	v_pk_mul_f16 v30, v22, v27 op_sel:[0,1]
	v_pk_mul_f16 v31, v22, v19 op_sel:[0,1]
	;; [unrolled: 1-line block ×4, first 2 shown]
	v_pk_fma_f16 v34, v22, v19, v31 op_sel:[0,0,1] op_sel_hi:[1,1,0] neg_lo:[0,0,1] neg_hi:[0,0,1]
	v_pk_fma_f16 v19, v22, v19, v31 op_sel:[0,0,1] op_sel_hi:[1,0,0]
	v_pk_fma_f16 v31, v22, v18, v32 op_sel:[0,0,1] op_sel_hi:[1,1,0] neg_lo:[0,0,1] neg_hi:[0,0,1]
	v_pk_fma_f16 v18, v22, v18, v32 op_sel:[0,0,1] op_sel_hi:[1,0,0]
	;; [unrolled: 2-line block ×4, first 2 shown]
	v_bfi_b32 v21, s0, v30, v21
	v_bfi_b32 v22, s0, v32, v27
	;; [unrolled: 1-line block ×4, first 2 shown]
	v_pk_add_f16 v21, v20, v21 neg_lo:[0,1] neg_hi:[0,1]
	v_pk_add_f16 v22, v26, v22 neg_lo:[0,1] neg_hi:[0,1]
	;; [unrolled: 1-line block ×4, first 2 shown]
	v_pk_fma_f16 v20, v20, 2.0, v21 op_sel_hi:[1,0,1] neg_lo:[0,0,1] neg_hi:[0,0,1]
	v_pk_fma_f16 v26, v26, 2.0, v22 op_sel_hi:[1,0,1] neg_lo:[0,0,1] neg_hi:[0,0,1]
	;; [unrolled: 1-line block ×4, first 2 shown]
	ds_write2_b32 v15, v20, v21 offset1:2
	ds_write2_b32 v23, v28, v18 offset1:2
	;; [unrolled: 1-line block ×4, first 2 shown]
	v_and_b32_e32 v15, 3, v0
	v_lshlrev_b32_e32 v18, 2, v15
	s_waitcnt lgkmcnt(0)
	s_barrier
	global_load_dword v22, v18, s[8:9] offset:8
	v_and_or_b32 v18, v7, s1, v15
	v_and_or_b32 v19, v9, s4, v15
	;; [unrolled: 1-line block ×3, first 2 shown]
	v_lshl_add_u32 v25, v18, 2, 0
	v_lshl_add_u32 v26, v19, 2, 0
	;; [unrolled: 1-line block ×3, first 2 shown]
	ds_read2st64_b32 v[18:19], v16 offset1:7
	ds_read2_b32 v[20:21], v14 offset0:48 offset1:160
	ds_read_b32 v28, v12
	ds_read_b32 v29, v10
	;; [unrolled: 1-line block ×3, first 2 shown]
	ds_read_b32 v31, v16 offset:3136
	v_and_b32_e32 v23, 7, v0
	v_and_or_b32 v15, v13, s5, v15
	v_lshlrev_b32_e32 v24, 2, v23
	v_lshl_add_u32 v15, v15, 2, 0
	s_waitcnt vmcnt(0) lgkmcnt(0)
	s_barrier
	s_movk_i32 s1, 0xf0
	s_movk_i32 s4, 0x1f0
	;; [unrolled: 1-line block ×3, first 2 shown]
	v_pk_mul_f16 v32, v22, v19 op_sel:[0,1]
	v_pk_mul_f16 v33, v22, v21 op_sel:[0,1]
	;; [unrolled: 1-line block ×4, first 2 shown]
	v_pk_fma_f16 v36, v22, v19, v32 op_sel:[0,0,1] op_sel_hi:[1,1,0] neg_lo:[0,0,1] neg_hi:[0,0,1]
	v_pk_fma_f16 v19, v22, v19, v32 op_sel:[0,0,1] op_sel_hi:[1,0,0]
	v_pk_fma_f16 v32, v22, v21, v33 op_sel:[0,0,1] op_sel_hi:[1,1,0] neg_lo:[0,0,1] neg_hi:[0,0,1]
	v_pk_fma_f16 v21, v22, v21, v33 op_sel:[0,0,1] op_sel_hi:[1,0,0]
	;; [unrolled: 2-line block ×4, first 2 shown]
	v_bfi_b32 v19, s0, v36, v19
	v_bfi_b32 v22, s0, v34, v22
	;; [unrolled: 1-line block ×4, first 2 shown]
	v_pk_add_f16 v19, v18, v19 neg_lo:[0,1] neg_hi:[0,1]
	v_pk_add_f16 v22, v28, v22 neg_lo:[0,1] neg_hi:[0,1]
	;; [unrolled: 1-line block ×4, first 2 shown]
	v_pk_fma_f16 v18, v18, 2.0, v19 op_sel_hi:[1,0,1] neg_lo:[0,0,1] neg_hi:[0,0,1]
	v_pk_fma_f16 v28, v28, 2.0, v22 op_sel_hi:[1,0,1] neg_lo:[0,0,1] neg_hi:[0,0,1]
	;; [unrolled: 1-line block ×4, first 2 shown]
	ds_write2_b32 v25, v18, v19 offset1:4
	ds_write2_b32 v26, v30, v20 offset1:4
	;; [unrolled: 1-line block ×4, first 2 shown]
	s_waitcnt lgkmcnt(0)
	s_barrier
	global_load_dword v15, v24, s[8:9] offset:24
	v_and_or_b32 v18, v7, s1, v23
	v_and_or_b32 v19, v9, s4, v23
	;; [unrolled: 1-line block ×4, first 2 shown]
	v_lshl_add_u32 v24, v18, 2, 0
	v_lshl_add_u32 v25, v19, 2, 0
	v_lshl_add_u32 v26, v20, 2, 0
	v_lshl_add_u32 v27, v21, 2, 0
	ds_read2st64_b32 v[18:19], v16 offset1:7
	ds_read2_b32 v[20:21], v14 offset0:48 offset1:160
	ds_read_b32 v28, v12
	ds_read_b32 v29, v10
	;; [unrolled: 1-line block ×3, first 2 shown]
	ds_read_b32 v31, v16 offset:3136
	v_and_b32_e32 v22, 15, v0
	v_lshlrev_b32_e32 v23, 2, v22
	s_waitcnt vmcnt(0) lgkmcnt(0)
	s_barrier
	s_movk_i32 s1, 0xe0
	s_movk_i32 s4, 0x1e0
	;; [unrolled: 1-line block ×3, first 2 shown]
	v_pk_mul_f16 v32, v15, v19 op_sel:[0,1]
	v_pk_mul_f16 v33, v15, v21 op_sel:[0,1]
	;; [unrolled: 1-line block ×4, first 2 shown]
	v_pk_fma_f16 v36, v15, v19, v32 op_sel:[0,0,1] op_sel_hi:[1,1,0] neg_lo:[0,0,1] neg_hi:[0,0,1]
	v_pk_fma_f16 v19, v15, v19, v32 op_sel:[0,0,1] op_sel_hi:[1,0,0]
	v_pk_fma_f16 v32, v15, v21, v33 op_sel:[0,0,1] op_sel_hi:[1,1,0] neg_lo:[0,0,1] neg_hi:[0,0,1]
	v_pk_fma_f16 v21, v15, v21, v33 op_sel:[0,0,1] op_sel_hi:[1,0,0]
	;; [unrolled: 2-line block ×4, first 2 shown]
	v_bfi_b32 v19, s0, v36, v19
	v_bfi_b32 v15, s0, v34, v15
	;; [unrolled: 1-line block ×4, first 2 shown]
	v_pk_add_f16 v19, v18, v19 neg_lo:[0,1] neg_hi:[0,1]
	v_pk_add_f16 v15, v28, v15 neg_lo:[0,1] neg_hi:[0,1]
	v_pk_add_f16 v21, v29, v21 neg_lo:[0,1] neg_hi:[0,1]
	v_pk_add_f16 v20, v30, v20 neg_lo:[0,1] neg_hi:[0,1]
	v_pk_fma_f16 v18, v18, 2.0, v19 op_sel_hi:[1,0,1] neg_lo:[0,0,1] neg_hi:[0,0,1]
	v_pk_fma_f16 v28, v28, 2.0, v15 op_sel_hi:[1,0,1] neg_lo:[0,0,1] neg_hi:[0,0,1]
	;; [unrolled: 1-line block ×4, first 2 shown]
	ds_write2_b32 v24, v18, v19 offset1:8
	ds_write2_b32 v25, v30, v20 offset1:8
	;; [unrolled: 1-line block ×4, first 2 shown]
	s_waitcnt lgkmcnt(0)
	s_barrier
	global_load_dword v15, v23, s[8:9] offset:56
	v_and_or_b32 v18, v7, s1, v22
	v_and_or_b32 v19, v9, s4, v22
	;; [unrolled: 1-line block ×4, first 2 shown]
	v_lshl_add_u32 v27, v18, 2, 0
	v_lshl_add_u32 v28, v19, 2, 0
	;; [unrolled: 1-line block ×4, first 2 shown]
	ds_read2st64_b32 v[18:19], v16 offset1:7
	ds_read2_b32 v[20:21], v14 offset0:48 offset1:160
	ds_read_b32 v31, v12
	ds_read_b32 v32, v10
	;; [unrolled: 1-line block ×3, first 2 shown]
	ds_read_b32 v34, v16 offset:3136
	v_and_b32_e32 v23, 31, v0
	v_and_b32_e32 v24, 31, v17
	;; [unrolled: 1-line block ×3, first 2 shown]
	v_lshlrev_b32_e32 v22, 2, v23
	v_lshlrev_b32_e32 v26, 2, v24
	s_waitcnt vmcnt(0) lgkmcnt(0)
	s_barrier
	s_movk_i32 s1, 0xc0
	s_movk_i32 s4, 0x1c0
	;; [unrolled: 1-line block ×3, first 2 shown]
	v_pk_mul_f16 v35, v15, v19 op_sel:[0,1]
	v_pk_mul_f16 v36, v15, v20 op_sel:[0,1]
	v_pk_mul_f16 v37, v15, v21 op_sel:[0,1]
	v_pk_mul_f16 v38, v15, v34 op_sel:[0,1]
	v_pk_fma_f16 v39, v15, v19, v35 op_sel:[0,0,1] op_sel_hi:[1,1,0] neg_lo:[0,0,1] neg_hi:[0,0,1]
	v_pk_fma_f16 v19, v15, v19, v35 op_sel:[0,0,1] op_sel_hi:[1,0,0]
	v_pk_fma_f16 v35, v15, v20, v36 op_sel:[0,0,1] op_sel_hi:[1,1,0] neg_lo:[0,0,1] neg_hi:[0,0,1]
	v_pk_fma_f16 v20, v15, v20, v36 op_sel:[0,0,1] op_sel_hi:[1,0,0]
	;; [unrolled: 2-line block ×4, first 2 shown]
	v_bfi_b32 v19, s0, v39, v19
	v_bfi_b32 v20, s0, v35, v20
	;; [unrolled: 1-line block ×4, first 2 shown]
	v_pk_add_f16 v19, v18, v19 neg_lo:[0,1] neg_hi:[0,1]
	v_pk_add_f16 v20, v33, v20 neg_lo:[0,1] neg_hi:[0,1]
	;; [unrolled: 1-line block ×4, first 2 shown]
	v_pk_fma_f16 v18, v18, 2.0, v19 op_sel_hi:[1,0,1] neg_lo:[0,0,1] neg_hi:[0,0,1]
	v_pk_fma_f16 v33, v33, 2.0, v20 op_sel_hi:[1,0,1] neg_lo:[0,0,1] neg_hi:[0,0,1]
	;; [unrolled: 1-line block ×4, first 2 shown]
	ds_write2_b32 v27, v18, v19 offset1:16
	ds_write2_b32 v28, v33, v20 offset1:16
	;; [unrolled: 1-line block ×4, first 2 shown]
	s_waitcnt lgkmcnt(0)
	s_barrier
	global_load_dword v15, v22, s[8:9] offset:120
	global_load_dword v20, v26, s[8:9] offset:120
	v_lshlrev_b32_e32 v18, 2, v25
	global_load_dword v21, v18, s[8:9] offset:120
	v_and_b32_e32 v27, 63, v5
	v_and_b32_e32 v28, 63, v6
	v_and_or_b32 v5, v7, s1, v23
	v_and_or_b32 v6, v9, s4, v24
	v_and_or_b32 v18, v11, s5, v23
	v_and_or_b32 v19, v13, s5, v25
	v_lshl_add_u32 v30, v5, 2, 0
	v_lshl_add_u32 v31, v6, 2, 0
	v_lshl_add_u32 v32, v18, 2, 0
	v_lshl_add_u32 v33, v19, 2, 0
	ds_read2_b32 v[5:6], v14 offset0:48 offset1:160
	ds_read2st64_b32 v[18:19], v16 offset1:7
	ds_read_b32 v34, v12
	ds_read_b32 v35, v10
	;; [unrolled: 1-line block ×3, first 2 shown]
	ds_read_b32 v37, v16 offset:3136
	v_and_b32_e32 v22, 63, v0
	v_and_b32_e32 v26, 63, v17
	v_lshlrev_b32_e32 v29, 2, v28
	v_lshlrev_b32_e32 v23, 2, v22
	;; [unrolled: 1-line block ×4, first 2 shown]
	s_waitcnt vmcnt(0) lgkmcnt(0)
	s_barrier
	s_movk_i32 s1, 0x80
	s_movk_i32 s4, 0x180
	;; [unrolled: 1-line block ×3, first 2 shown]
	v_pk_mul_f16 v38, v15, v6 op_sel:[0,1]
	v_pk_mul_f16 v39, v20, v5 op_sel:[0,1]
	;; [unrolled: 1-line block ×4, first 2 shown]
	v_pk_fma_f16 v42, v20, v5, v39 op_sel:[0,0,1] op_sel_hi:[1,1,0] neg_lo:[0,0,1] neg_hi:[0,0,1]
	v_pk_fma_f16 v5, v20, v5, v39 op_sel:[0,0,1] op_sel_hi:[1,0,0]
	v_pk_fma_f16 v20, v15, v6, v38 op_sel:[0,0,1] op_sel_hi:[1,1,0] neg_lo:[0,0,1] neg_hi:[0,0,1]
	v_pk_fma_f16 v6, v15, v6, v38 op_sel:[0,0,1] op_sel_hi:[1,0,0]
	;; [unrolled: 2-line block ×4, first 2 shown]
	v_bfi_b32 v15, s0, v38, v15
	v_bfi_b32 v5, s0, v42, v5
	;; [unrolled: 1-line block ×4, first 2 shown]
	v_pk_add_f16 v15, v18, v15 neg_lo:[0,1] neg_hi:[0,1]
	v_pk_add_f16 v5, v36, v5 neg_lo:[0,1] neg_hi:[0,1]
	v_pk_add_f16 v19, v34, v19 neg_lo:[0,1] neg_hi:[0,1]
	v_pk_add_f16 v6, v35, v6 neg_lo:[0,1] neg_hi:[0,1]
	v_pk_fma_f16 v18, v18, 2.0, v15 op_sel_hi:[1,0,1] neg_lo:[0,0,1] neg_hi:[0,0,1]
	v_pk_fma_f16 v20, v36, 2.0, v5 op_sel_hi:[1,0,1] neg_lo:[0,0,1] neg_hi:[0,0,1]
	v_pk_fma_f16 v21, v34, 2.0, v19 op_sel_hi:[1,0,1] neg_lo:[0,0,1] neg_hi:[0,0,1]
	v_pk_fma_f16 v34, v35, 2.0, v6 op_sel_hi:[1,0,1] neg_lo:[0,0,1] neg_hi:[0,0,1]
	ds_write2_b32 v30, v18, v15 offset1:32
	ds_write2_b32 v31, v20, v5 offset1:32
	;; [unrolled: 1-line block ×4, first 2 shown]
	s_waitcnt lgkmcnt(0)
	s_barrier
	global_load_dword v15, v29, s[8:9] offset:248
	global_load_dword v18, v25, s[8:9] offset:248
	;; [unrolled: 1-line block ×4, first 2 shown]
	v_and_or_b32 v5, v7, s1, v22
	v_and_or_b32 v6, v9, s4, v26
	;; [unrolled: 1-line block ×4, first 2 shown]
	v_lshl_add_u32 v11, v5, 2, 0
	v_lshl_add_u32 v13, v6, 2, 0
	;; [unrolled: 1-line block ×3, first 2 shown]
	ds_read2st64_b32 v[5:6], v16 offset1:7
	ds_read_b32 v12, v12
	ds_read_b32 v10, v10
	;; [unrolled: 1-line block ×3, first 2 shown]
	ds_read_b32 v23, v16 offset:3136
	ds_read2_b32 v[7:8], v14 offset0:48 offset1:160
	v_lshl_add_u32 v9, v9, 2, 0
	s_waitcnt vmcnt(0) lgkmcnt(0)
	s_barrier
	v_pk_mul_f16 v14, v15, v23 op_sel:[0,1]
	v_pk_mul_f16 v24, v18, v8 op_sel:[0,1]
	;; [unrolled: 1-line block ×4, first 2 shown]
	v_pk_fma_f16 v27, v15, v23, v14 op_sel:[0,0,1] op_sel_hi:[1,1,0] neg_lo:[0,0,1] neg_hi:[0,0,1]
	v_pk_fma_f16 v14, v15, v23, v14 op_sel:[0,0,1] op_sel_hi:[1,0,0]
	v_pk_fma_f16 v15, v18, v8, v24 op_sel:[0,0,1] op_sel_hi:[1,1,0] neg_lo:[0,0,1] neg_hi:[0,0,1]
	v_pk_fma_f16 v8, v18, v8, v24 op_sel:[0,0,1] op_sel_hi:[1,0,0]
	;; [unrolled: 2-line block ×4, first 2 shown]
	v_bfi_b32 v14, s0, v27, v14
	v_bfi_b32 v8, s0, v15, v8
	;; [unrolled: 1-line block ×4, first 2 shown]
	v_pk_add_f16 v18, v12, v14 neg_lo:[0,1] neg_hi:[0,1]
	v_pk_add_f16 v8, v10, v8 neg_lo:[0,1] neg_hi:[0,1]
	;; [unrolled: 1-line block ×4, first 2 shown]
	v_pk_fma_f16 v12, v12, 2.0, v18 op_sel_hi:[1,0,1] neg_lo:[0,0,1] neg_hi:[0,0,1]
	v_pk_fma_f16 v10, v10, 2.0, v8 op_sel_hi:[1,0,1] neg_lo:[0,0,1] neg_hi:[0,0,1]
	;; [unrolled: 1-line block ×4, first 2 shown]
	ds_write2st64_b32 v11, v5, v6 offset1:1
	ds_write2st64_b32 v13, v14, v7 offset1:1
	;; [unrolled: 1-line block ×4, first 2 shown]
	s_waitcnt lgkmcnt(0)
	s_barrier
	ds_read2st64_b32 v[10:11], v16 offset1:2
	ds_read2st64_b32 v[14:15], v16 offset0:4 offset1:6
	ds_read2st64_b32 v[12:13], v16 offset0:8 offset1:10
	ds_read_b32 v26, v16 offset:3072
	v_cmp_gt_u32_e64 s[0:1], 16, v0
	v_lshrrev_b32_e32 v19, 16, v18
                                        ; implicit-def: $vgpr20
                                        ; implicit-def: $vgpr5
                                        ; implicit-def: $vgpr21
                                        ; implicit-def: $vgpr7
                                        ; implicit-def: $vgpr24
                                        ; implicit-def: $vgpr9
                                        ; implicit-def: $vgpr22
                                        ; implicit-def: $vgpr23
                                        ; implicit-def: $vgpr25
	s_and_saveexec_b64 s[4:5], s[0:1]
	s_cbranch_execz .LBB0_15
; %bb.14:
	v_sub_u32_e32 v4, 0, v4
	v_add_u32_e32 v1, v1, v4
	ds_read_b32 v18, v1
	v_add_u32_e32 v1, 0xc0, v16
	ds_read2st64_b32 v[4:5], v1 offset0:3 offset1:5
	ds_read2st64_b32 v[6:7], v1 offset0:7 offset1:9
	;; [unrolled: 1-line block ×3, first 2 shown]
	s_waitcnt lgkmcnt(2)
	v_lshrrev_b32_e32 v20, 16, v5
	v_lshrrev_b32_e32 v19, 16, v18
	s_waitcnt lgkmcnt(1)
	v_lshrrev_b32_e32 v23, 16, v6
	v_lshrrev_b32_e32 v21, 16, v7
	;; [unrolled: 3-line block ×3, first 2 shown]
	v_lshrrev_b32_e32 v25, 16, v4
.LBB0_15:
	s_or_b64 exec, exec, s[4:5]
	v_mul_u32_u24_e32 v1, 6, v0
	v_lshlrev_b32_e32 v1, 2, v1
	global_load_dwordx4 v[27:30], v1, s[8:9] offset:504
	global_load_dwordx2 v[31:32], v1, s[8:9] offset:520
	s_waitcnt lgkmcnt(0)
	v_lshrrev_b32_e32 v1, 16, v26
	v_lshrrev_b32_e32 v33, 16, v13
	;; [unrolled: 1-line block ×6, first 2 shown]
	s_movk_i32 s11, 0x2b26
	s_mov_b32 s10, 0xbcab
	s_movk_i32 s7, 0x39e0
	s_mov_b32 s12, 0xb9e0
	s_movk_i32 s14, 0x3574
	s_movk_i32 s6, 0x3b00
	s_mov_b32 s15, 0xb574
	s_movk_i32 s13, 0x370e
	s_waitcnt vmcnt(0)
	s_barrier
	v_mul_f16_sdwa v38, v27, v37 dst_sel:DWORD dst_unused:UNUSED_PAD src0_sel:WORD_1 src1_sel:DWORD
	v_mul_f16_sdwa v39, v27, v11 dst_sel:DWORD dst_unused:UNUSED_PAD src0_sel:WORD_1 src1_sel:DWORD
	;; [unrolled: 1-line block ×12, first 2 shown]
	v_fma_f16 v14, v28, v14, -v40
	v_fma_f16 v37, v27, v37, v39
	v_fma_f16 v28, v28, v36, v41
	v_fma_f16 v11, v27, v11, -v38
	v_fma_f16 v13, v31, v13, -v46
	v_fma_f16 v27, v31, v33, v47
	v_fma_f16 v26, v32, v26, -v48
	v_fma_f16 v1, v32, v1, v49
	;; [unrolled: 2-line block ×3, first 2 shown]
	v_fma_f16 v34, v30, v34, v45
	v_fma_f16 v12, v30, v12, -v44
	v_add_f16_e32 v30, v11, v26
	v_add_f16_e32 v31, v37, v1
	v_sub_f16_e32 v11, v11, v26
	v_add_f16_e32 v26, v14, v13
	v_add_f16_e32 v32, v28, v27
	v_sub_f16_e32 v13, v14, v13
	v_sub_f16_e32 v14, v28, v27
	v_add_f16_e32 v27, v15, v12
	v_add_f16_e32 v28, v29, v34
	v_sub_f16_e32 v12, v12, v15
	;; [unrolled: 4-line block ×3, first 2 shown]
	v_sub_f16_e32 v34, v26, v30
	v_sub_f16_e32 v35, v32, v31
	;; [unrolled: 1-line block ×6, first 2 shown]
	v_add_f16_e32 v36, v12, v13
	v_add_f16_e32 v37, v15, v14
	v_sub_f16_e32 v38, v12, v13
	v_sub_f16_e32 v39, v15, v14
	v_add_f16_e32 v27, v27, v29
	v_add_f16_e32 v28, v28, v33
	v_sub_f16_e32 v12, v11, v12
	v_sub_f16_e32 v15, v1, v15
	v_sub_f16_e32 v13, v13, v11
	v_sub_f16_e32 v14, v14, v1
	v_add_f16_e32 v11, v36, v11
	v_add_f16_e32 v1, v37, v1
	v_mul_f16_e32 v29, 0x3a52, v30
	v_mul_f16_e32 v30, 0x3a52, v31
	;; [unrolled: 1-line block ×6, first 2 shown]
	v_add_f16_e32 v40, v27, v10
	v_add_f16_sdwa v10, v28, v10 dst_sel:DWORD dst_unused:UNUSED_PAD src0_sel:DWORD src1_sel:WORD_1
	v_mul_f16_e32 v38, 0x3b00, v13
	v_mul_f16_e32 v39, 0x3b00, v14
	v_fma_f16 v26, v26, s11, v29
	v_fma_f16 v32, v32, s11, v30
	v_fma_f16 v31, v34, s7, -v31
	v_fma_f16 v33, v35, s7, -v33
	;; [unrolled: 1-line block ×4, first 2 shown]
	v_fma_f16 v27, v27, s10, v40
	v_fma_f16 v28, v28, s10, v10
	;; [unrolled: 1-line block ×4, first 2 shown]
	v_fma_f16 v13, v13, s6, -v36
	v_fma_f16 v14, v14, s6, -v37
	;; [unrolled: 1-line block ×4, first 2 shown]
	v_add_f16_e32 v26, v26, v27
	v_add_f16_e32 v32, v32, v28
	;; [unrolled: 1-line block ×6, first 2 shown]
	v_fma_f16 v29, v11, s13, v34
	v_fma_f16 v30, v1, s13, v35
	;; [unrolled: 1-line block ×6, first 2 shown]
	v_add_f16_e32 v12, v30, v26
	v_sub_f16_e32 v15, v32, v29
	v_add_f16_e32 v34, v1, v27
	v_sub_f16_e32 v35, v28, v11
	v_sub_f16_e32 v36, v31, v14
	v_add_f16_e32 v37, v13, v33
	v_pack_b32_f16 v10, v40, v10
	v_pack_b32_f16 v12, v12, v15
	v_add_f16_e32 v14, v14, v31
	v_sub_f16_e32 v13, v33, v13
	v_sub_f16_e32 v1, v27, v1
	v_add_f16_e32 v11, v11, v28
	ds_write2st64_b32 v16, v10, v12 offset1:2
	v_pack_b32_f16 v10, v34, v35
	v_pack_b32_f16 v12, v36, v37
	v_sub_f16_e32 v26, v26, v30
	v_add_f16_e32 v27, v29, v32
	ds_write2st64_b32 v16, v10, v12 offset0:4 offset1:6
	v_pack_b32_f16 v10, v14, v13
	v_pack_b32_f16 v1, v1, v11
	ds_write2st64_b32 v16, v10, v1 offset0:8 offset1:10
	v_pack_b32_f16 v1, v26, v27
	ds_write_b32 v16, v1 offset:3072
	s_and_saveexec_b64 s[4:5], s[0:1]
	s_cbranch_execz .LBB0_17
; %bb.16:
	v_and_b32_e32 v1, 0x7f, v17
	v_mul_u32_u24_e32 v1, 6, v1
	v_lshlrev_b32_e32 v1, 2, v1
	global_load_dwordx4 v[10:13], v1, s[8:9] offset:504
	global_load_dwordx2 v[14:15], v1, s[8:9] offset:520
	s_waitcnt vmcnt(1)
	v_mul_f16_sdwa v1, v25, v10 dst_sel:DWORD dst_unused:UNUSED_PAD src0_sel:DWORD src1_sel:WORD_1
	s_waitcnt vmcnt(0)
	v_mul_f16_sdwa v17, v24, v15 dst_sel:DWORD dst_unused:UNUSED_PAD src0_sel:DWORD src1_sel:WORD_1
	v_mul_f16_sdwa v28, v20, v11 dst_sel:DWORD dst_unused:UNUSED_PAD src0_sel:DWORD src1_sel:WORD_1
	;; [unrolled: 1-line block ×11, first 2 shown]
	v_fma_f16 v1, v4, v10, -v1
	v_fma_f16 v4, v9, v15, -v17
	;; [unrolled: 1-line block ×4, first 2 shown]
	v_fma_f16 v9, v24, v15, v30
	v_fma_f16 v10, v25, v10, v31
	;; [unrolled: 1-line block ×4, first 2 shown]
	v_fma_f16 v7, v7, v13, -v26
	v_fma_f16 v6, v6, v12, -v27
	v_fma_f16 v12, v23, v12, v32
	v_fma_f16 v13, v21, v13, v33
	v_sub_f16_e32 v15, v1, v4
	v_sub_f16_e32 v20, v5, v8
	v_add_f16_e32 v21, v10, v9
	v_add_f16_e32 v23, v11, v14
	;; [unrolled: 1-line block ×4, first 2 shown]
	v_sub_f16_e32 v17, v7, v6
	v_add_f16_e32 v22, v12, v13
	v_add_f16_e32 v4, v6, v7
	v_sub_f16_e32 v6, v10, v9
	v_sub_f16_e32 v7, v13, v12
	;; [unrolled: 1-line block ×3, first 2 shown]
	v_add_f16_e32 v14, v23, v21
	v_add_f16_e32 v25, v5, v1
	v_sub_f16_e32 v9, v15, v17
	v_sub_f16_e32 v10, v17, v20
	v_add_f16_e32 v11, v17, v20
	v_sub_f16_e32 v12, v21, v22
	v_sub_f16_e32 v13, v22, v23
	;; [unrolled: 1-line block ×6, first 2 shown]
	v_add_f16_e32 v7, v7, v8
	v_sub_f16_e32 v20, v20, v15
	v_sub_f16_e32 v1, v5, v1
	;; [unrolled: 1-line block ×3, first 2 shown]
	v_add_f16_e32 v14, v22, v14
	v_add_f16_e32 v4, v4, v25
	v_sub_f16_e32 v21, v23, v21
	v_mul_f16_e32 v8, 0xb846, v10
	v_add_f16_e32 v10, v11, v15
	v_mul_f16_e32 v11, 0x3a52, v12
	v_mul_f16_e32 v12, 0x2b26, v13
	;; [unrolled: 1-line block ×5, first 2 shown]
	v_add_f16_e32 v6, v7, v6
	v_mul_f16_e32 v7, 0x3b00, v20
	v_mul_f16_e32 v23, 0x3b00, v5
	v_add_f16_e32 v19, v19, v14
	v_add_f16_e32 v18, v18, v4
	v_fma_f16 v25, v9, s14, v8
	v_fma_f16 v13, v13, s11, v11
	v_fma_f16 v24, v24, s11, v15
	v_fma_f16 v7, v9, s15, -v7
	v_fma_f16 v9, v21, s12, -v11
	;; [unrolled: 1-line block ×4, first 2 shown]
	v_fma_f16 v14, v14, s10, v19
	v_fma_f16 v4, v4, s10, v18
	v_fma_f16 v12, v21, s7, -v12
	v_fma_f16 v8, v20, s6, -v8
	;; [unrolled: 1-line block ×4, first 2 shown]
	v_fma_f16 v27, v26, s14, v22
	v_fma_f16 v7, v10, s13, v7
	;; [unrolled: 1-line block ×3, first 2 shown]
	v_add_f16_e32 v9, v9, v14
	v_add_f16_e32 v11, v11, v4
	;; [unrolled: 1-line block ×3, first 2 shown]
	v_fma_f16 v8, v10, s13, v8
	v_fma_f16 v5, v6, s13, v5
	v_add_f16_e32 v1, v1, v4
	v_fma_f16 v23, v10, s13, v25
	v_fma_f16 v25, v6, s13, v27
	v_add_f16_e32 v24, v24, v4
	v_add_f16_e32 v28, v7, v9
	;; [unrolled: 1-line block ×4, first 2 shown]
	v_sub_f16_e32 v1, v1, v5
	v_sub_f16_e32 v5, v9, v7
	v_add_f16_e32 v7, v15, v11
	v_add_f16_e32 v13, v13, v14
	v_sub_f16_e32 v29, v11, v15
	v_sub_f16_e32 v10, v12, v8
	v_pack_b32_f16 v5, v7, v5
	v_pack_b32_f16 v1, v1, v6
	v_add_u32_e32 v6, 0xc0, v16
	v_add_f16_e32 v26, v23, v13
	v_sub_f16_e32 v27, v24, v25
	v_sub_f16_e32 v8, v13, v23
	v_add_f16_e32 v9, v25, v24
	ds_write2st64_b32 v6, v5, v1 offset0:5 offset1:7
	v_pack_b32_f16 v1, v4, v10
	v_pack_b32_f16 v4, v29, v28
	;; [unrolled: 1-line block ×4, first 2 shown]
	ds_write2st64_b32 v6, v1, v4 offset0:9 offset1:11
	v_pack_b32_f16 v1, v27, v26
	ds_write2_b32 v16, v11, v8 offset0:112 offset1:240
	ds_write_b32 v16, v1 offset:3520
.LBB0_17:
	s_or_b64 exec, exec, s[4:5]
	s_waitcnt lgkmcnt(0)
	s_barrier
	s_and_saveexec_b64 s[0:1], vcc
	s_cbranch_execz .LBB0_19
; %bb.18:
	v_mov_b32_e32 v1, 0
	ds_read2_b32 v[4:5], v16 offset1:112
	v_mov_b32_e32 v6, s3
	v_add_co_u32_e32 v2, vcc, s2, v2
	v_lshlrev_b64 v[0:1], 2, v[0:1]
	v_addc_co_u32_e32 v3, vcc, v6, v3, vcc
	v_add_co_u32_e32 v0, vcc, v2, v0
	v_addc_co_u32_e32 v1, vcc, v3, v1, vcc
	s_waitcnt lgkmcnt(0)
	global_store_dword v[0:1], v4, off
	global_store_dword v[0:1], v5, off offset:448
	v_add_u32_e32 v2, 0x200, v16
	ds_read2_b32 v[2:3], v2 offset0:96 offset1:208
	v_add_u32_e32 v4, 0x600, v16
	ds_read2_b32 v[4:5], v4 offset0:64 offset1:176
	;; [unrolled: 2-line block ×3, first 2 shown]
	s_waitcnt lgkmcnt(2)
	global_store_dword v[0:1], v2, off offset:896
	global_store_dword v[0:1], v3, off offset:1344
	s_waitcnt lgkmcnt(1)
	global_store_dword v[0:1], v4, off offset:1792
	global_store_dword v[0:1], v5, off offset:2240
	s_waitcnt lgkmcnt(0)
	global_store_dword v[0:1], v6, off offset:2688
	global_store_dword v[0:1], v7, off offset:3136
.LBB0_19:
	s_endpgm
	.section	.rodata,"a",@progbits
	.p2align	6, 0x0
	.amdhsa_kernel fft_rtc_fwd_len896_factors_2_2_2_2_2_2_2_7_wgs_112_tpt_112_half_ip_CI_unitstride_sbrr_dirReg
		.amdhsa_group_segment_fixed_size 0
		.amdhsa_private_segment_fixed_size 0
		.amdhsa_kernarg_size 88
		.amdhsa_user_sgpr_count 6
		.amdhsa_user_sgpr_private_segment_buffer 1
		.amdhsa_user_sgpr_dispatch_ptr 0
		.amdhsa_user_sgpr_queue_ptr 0
		.amdhsa_user_sgpr_kernarg_segment_ptr 1
		.amdhsa_user_sgpr_dispatch_id 0
		.amdhsa_user_sgpr_flat_scratch_init 0
		.amdhsa_user_sgpr_private_segment_size 0
		.amdhsa_uses_dynamic_stack 0
		.amdhsa_system_sgpr_private_segment_wavefront_offset 0
		.amdhsa_system_sgpr_workgroup_id_x 1
		.amdhsa_system_sgpr_workgroup_id_y 0
		.amdhsa_system_sgpr_workgroup_id_z 0
		.amdhsa_system_sgpr_workgroup_info 0
		.amdhsa_system_vgpr_workitem_id 0
		.amdhsa_next_free_vgpr 50
		.amdhsa_next_free_sgpr 22
		.amdhsa_reserve_vcc 1
		.amdhsa_reserve_flat_scratch 0
		.amdhsa_float_round_mode_32 0
		.amdhsa_float_round_mode_16_64 0
		.amdhsa_float_denorm_mode_32 3
		.amdhsa_float_denorm_mode_16_64 3
		.amdhsa_dx10_clamp 1
		.amdhsa_ieee_mode 1
		.amdhsa_fp16_overflow 0
		.amdhsa_exception_fp_ieee_invalid_op 0
		.amdhsa_exception_fp_denorm_src 0
		.amdhsa_exception_fp_ieee_div_zero 0
		.amdhsa_exception_fp_ieee_overflow 0
		.amdhsa_exception_fp_ieee_underflow 0
		.amdhsa_exception_fp_ieee_inexact 0
		.amdhsa_exception_int_div_zero 0
	.end_amdhsa_kernel
	.text
.Lfunc_end0:
	.size	fft_rtc_fwd_len896_factors_2_2_2_2_2_2_2_7_wgs_112_tpt_112_half_ip_CI_unitstride_sbrr_dirReg, .Lfunc_end0-fft_rtc_fwd_len896_factors_2_2_2_2_2_2_2_7_wgs_112_tpt_112_half_ip_CI_unitstride_sbrr_dirReg
                                        ; -- End function
	.section	.AMDGPU.csdata,"",@progbits
; Kernel info:
; codeLenInByte = 5944
; NumSgprs: 26
; NumVgprs: 50
; ScratchSize: 0
; MemoryBound: 0
; FloatMode: 240
; IeeeMode: 1
; LDSByteSize: 0 bytes/workgroup (compile time only)
; SGPRBlocks: 3
; VGPRBlocks: 12
; NumSGPRsForWavesPerEU: 26
; NumVGPRsForWavesPerEU: 50
; Occupancy: 4
; WaveLimiterHint : 1
; COMPUTE_PGM_RSRC2:SCRATCH_EN: 0
; COMPUTE_PGM_RSRC2:USER_SGPR: 6
; COMPUTE_PGM_RSRC2:TRAP_HANDLER: 0
; COMPUTE_PGM_RSRC2:TGID_X_EN: 1
; COMPUTE_PGM_RSRC2:TGID_Y_EN: 0
; COMPUTE_PGM_RSRC2:TGID_Z_EN: 0
; COMPUTE_PGM_RSRC2:TIDIG_COMP_CNT: 0
	.type	__hip_cuid_43ee5889ef81d3aa,@object ; @__hip_cuid_43ee5889ef81d3aa
	.section	.bss,"aw",@nobits
	.globl	__hip_cuid_43ee5889ef81d3aa
__hip_cuid_43ee5889ef81d3aa:
	.byte	0                               ; 0x0
	.size	__hip_cuid_43ee5889ef81d3aa, 1

	.ident	"AMD clang version 19.0.0git (https://github.com/RadeonOpenCompute/llvm-project roc-6.4.0 25133 c7fe45cf4b819c5991fe208aaa96edf142730f1d)"
	.section	".note.GNU-stack","",@progbits
	.addrsig
	.addrsig_sym __hip_cuid_43ee5889ef81d3aa
	.amdgpu_metadata
---
amdhsa.kernels:
  - .args:
      - .actual_access:  read_only
        .address_space:  global
        .offset:         0
        .size:           8
        .value_kind:     global_buffer
      - .offset:         8
        .size:           8
        .value_kind:     by_value
      - .actual_access:  read_only
        .address_space:  global
        .offset:         16
        .size:           8
        .value_kind:     global_buffer
      - .actual_access:  read_only
        .address_space:  global
        .offset:         24
        .size:           8
        .value_kind:     global_buffer
      - .offset:         32
        .size:           8
        .value_kind:     by_value
      - .actual_access:  read_only
        .address_space:  global
        .offset:         40
        .size:           8
        .value_kind:     global_buffer
      - .actual_access:  read_only
        .address_space:  global
        .offset:         48
        .size:           8
        .value_kind:     global_buffer
      - .offset:         56
        .size:           4
        .value_kind:     by_value
      - .actual_access:  read_only
        .address_space:  global
        .offset:         64
        .size:           8
        .value_kind:     global_buffer
      - .actual_access:  read_only
        .address_space:  global
        .offset:         72
        .size:           8
        .value_kind:     global_buffer
      - .address_space:  global
        .offset:         80
        .size:           8
        .value_kind:     global_buffer
    .group_segment_fixed_size: 0
    .kernarg_segment_align: 8
    .kernarg_segment_size: 88
    .language:       OpenCL C
    .language_version:
      - 2
      - 0
    .max_flat_workgroup_size: 112
    .name:           fft_rtc_fwd_len896_factors_2_2_2_2_2_2_2_7_wgs_112_tpt_112_half_ip_CI_unitstride_sbrr_dirReg
    .private_segment_fixed_size: 0
    .sgpr_count:     26
    .sgpr_spill_count: 0
    .symbol:         fft_rtc_fwd_len896_factors_2_2_2_2_2_2_2_7_wgs_112_tpt_112_half_ip_CI_unitstride_sbrr_dirReg.kd
    .uniform_work_group_size: 1
    .uses_dynamic_stack: false
    .vgpr_count:     50
    .vgpr_spill_count: 0
    .wavefront_size: 64
amdhsa.target:   amdgcn-amd-amdhsa--gfx906
amdhsa.version:
  - 1
  - 2
...

	.end_amdgpu_metadata
